;; amdgpu-corpus repo=ROCm/rocFFT kind=compiled arch=gfx906 opt=O3
	.text
	.amdgcn_target "amdgcn-amd-amdhsa--gfx906"
	.amdhsa_code_object_version 6
	.protected	fft_rtc_back_len1320_factors_11_2_3_5_4_wgs_165_tpt_165_dp_ip_CI_unitstride_sbrr_dirReg ; -- Begin function fft_rtc_back_len1320_factors_11_2_3_5_4_wgs_165_tpt_165_dp_ip_CI_unitstride_sbrr_dirReg
	.globl	fft_rtc_back_len1320_factors_11_2_3_5_4_wgs_165_tpt_165_dp_ip_CI_unitstride_sbrr_dirReg
	.p2align	8
	.type	fft_rtc_back_len1320_factors_11_2_3_5_4_wgs_165_tpt_165_dp_ip_CI_unitstride_sbrr_dirReg,@function
fft_rtc_back_len1320_factors_11_2_3_5_4_wgs_165_tpt_165_dp_ip_CI_unitstride_sbrr_dirReg: ; @fft_rtc_back_len1320_factors_11_2_3_5_4_wgs_165_tpt_165_dp_ip_CI_unitstride_sbrr_dirReg
; %bb.0:
	s_load_dwordx2 s[12:13], s[4:5], 0x50
	s_load_dwordx4 s[8:11], s[4:5], 0x0
	s_load_dwordx2 s[2:3], s[4:5], 0x18
	v_mul_u32_u24_e32 v1, 0x18e, v0
	v_add_u32_sdwa v5, s6, v1 dst_sel:DWORD dst_unused:UNUSED_PAD src0_sel:DWORD src1_sel:WORD_1
	v_mov_b32_e32 v3, 0
	s_waitcnt lgkmcnt(0)
	v_cmp_lt_u64_e64 s[0:1], s[10:11], 2
	v_mov_b32_e32 v1, 0
	v_mov_b32_e32 v6, v3
	s_and_b64 vcc, exec, s[0:1]
	v_mov_b32_e32 v2, 0
	s_cbranch_vccnz .LBB0_8
; %bb.1:
	s_load_dwordx2 s[0:1], s[4:5], 0x10
	s_add_u32 s6, s2, 8
	s_addc_u32 s7, s3, 0
	v_mov_b32_e32 v1, 0
	v_mov_b32_e32 v2, 0
	s_waitcnt lgkmcnt(0)
	s_add_u32 s14, s0, 8
	s_addc_u32 s15, s1, 0
	s_mov_b64 s[16:17], 1
.LBB0_2:                                ; =>This Inner Loop Header: Depth=1
	s_load_dwordx2 s[18:19], s[14:15], 0x0
                                        ; implicit-def: $vgpr7_vgpr8
	s_waitcnt lgkmcnt(0)
	v_or_b32_e32 v4, s19, v6
	v_cmp_ne_u64_e32 vcc, 0, v[3:4]
	s_and_saveexec_b64 s[0:1], vcc
	s_xor_b64 s[20:21], exec, s[0:1]
	s_cbranch_execz .LBB0_4
; %bb.3:                                ;   in Loop: Header=BB0_2 Depth=1
	v_cvt_f32_u32_e32 v4, s18
	v_cvt_f32_u32_e32 v7, s19
	s_sub_u32 s0, 0, s18
	s_subb_u32 s1, 0, s19
	v_mac_f32_e32 v4, 0x4f800000, v7
	v_rcp_f32_e32 v4, v4
	v_mul_f32_e32 v4, 0x5f7ffffc, v4
	v_mul_f32_e32 v7, 0x2f800000, v4
	v_trunc_f32_e32 v7, v7
	v_mac_f32_e32 v4, 0xcf800000, v7
	v_cvt_u32_f32_e32 v7, v7
	v_cvt_u32_f32_e32 v4, v4
	v_mul_lo_u32 v8, s0, v7
	v_mul_hi_u32 v9, s0, v4
	v_mul_lo_u32 v11, s1, v4
	v_mul_lo_u32 v10, s0, v4
	v_add_u32_e32 v8, v9, v8
	v_add_u32_e32 v8, v8, v11
	v_mul_hi_u32 v9, v4, v10
	v_mul_lo_u32 v11, v4, v8
	v_mul_hi_u32 v13, v4, v8
	v_mul_hi_u32 v12, v7, v10
	v_mul_lo_u32 v10, v7, v10
	v_mul_hi_u32 v14, v7, v8
	v_add_co_u32_e32 v9, vcc, v9, v11
	v_addc_co_u32_e32 v11, vcc, 0, v13, vcc
	v_mul_lo_u32 v8, v7, v8
	v_add_co_u32_e32 v9, vcc, v9, v10
	v_addc_co_u32_e32 v9, vcc, v11, v12, vcc
	v_addc_co_u32_e32 v10, vcc, 0, v14, vcc
	v_add_co_u32_e32 v8, vcc, v9, v8
	v_addc_co_u32_e32 v9, vcc, 0, v10, vcc
	v_add_co_u32_e32 v4, vcc, v4, v8
	v_addc_co_u32_e32 v7, vcc, v7, v9, vcc
	v_mul_lo_u32 v8, s0, v7
	v_mul_hi_u32 v9, s0, v4
	v_mul_lo_u32 v10, s1, v4
	v_mul_lo_u32 v11, s0, v4
	v_add_u32_e32 v8, v9, v8
	v_add_u32_e32 v8, v8, v10
	v_mul_lo_u32 v12, v4, v8
	v_mul_hi_u32 v13, v4, v11
	v_mul_hi_u32 v14, v4, v8
	;; [unrolled: 1-line block ×3, first 2 shown]
	v_mul_lo_u32 v11, v7, v11
	v_mul_hi_u32 v9, v7, v8
	v_add_co_u32_e32 v12, vcc, v13, v12
	v_addc_co_u32_e32 v13, vcc, 0, v14, vcc
	v_mul_lo_u32 v8, v7, v8
	v_add_co_u32_e32 v11, vcc, v12, v11
	v_addc_co_u32_e32 v10, vcc, v13, v10, vcc
	v_addc_co_u32_e32 v9, vcc, 0, v9, vcc
	v_add_co_u32_e32 v8, vcc, v10, v8
	v_addc_co_u32_e32 v9, vcc, 0, v9, vcc
	v_add_co_u32_e32 v4, vcc, v4, v8
	v_addc_co_u32_e32 v9, vcc, v7, v9, vcc
	v_mad_u64_u32 v[7:8], s[0:1], v5, v9, 0
	v_mul_hi_u32 v10, v5, v4
	v_add_co_u32_e32 v11, vcc, v10, v7
	v_addc_co_u32_e32 v12, vcc, 0, v8, vcc
	v_mad_u64_u32 v[7:8], s[0:1], v6, v4, 0
	v_mad_u64_u32 v[9:10], s[0:1], v6, v9, 0
	v_add_co_u32_e32 v4, vcc, v11, v7
	v_addc_co_u32_e32 v4, vcc, v12, v8, vcc
	v_addc_co_u32_e32 v7, vcc, 0, v10, vcc
	v_add_co_u32_e32 v4, vcc, v4, v9
	v_addc_co_u32_e32 v9, vcc, 0, v7, vcc
	v_mul_lo_u32 v10, s19, v4
	v_mul_lo_u32 v11, s18, v9
	v_mad_u64_u32 v[7:8], s[0:1], s18, v4, 0
	v_add3_u32 v8, v8, v11, v10
	v_sub_u32_e32 v10, v6, v8
	v_mov_b32_e32 v11, s19
	v_sub_co_u32_e32 v7, vcc, v5, v7
	v_subb_co_u32_e64 v10, s[0:1], v10, v11, vcc
	v_subrev_co_u32_e64 v11, s[0:1], s18, v7
	v_subbrev_co_u32_e64 v10, s[0:1], 0, v10, s[0:1]
	v_cmp_le_u32_e64 s[0:1], s19, v10
	v_cndmask_b32_e64 v12, 0, -1, s[0:1]
	v_cmp_le_u32_e64 s[0:1], s18, v11
	v_cndmask_b32_e64 v11, 0, -1, s[0:1]
	v_cmp_eq_u32_e64 s[0:1], s19, v10
	v_cndmask_b32_e64 v10, v12, v11, s[0:1]
	v_add_co_u32_e64 v11, s[0:1], 2, v4
	v_addc_co_u32_e64 v12, s[0:1], 0, v9, s[0:1]
	v_add_co_u32_e64 v13, s[0:1], 1, v4
	v_addc_co_u32_e64 v14, s[0:1], 0, v9, s[0:1]
	v_subb_co_u32_e32 v8, vcc, v6, v8, vcc
	v_cmp_ne_u32_e64 s[0:1], 0, v10
	v_cmp_le_u32_e32 vcc, s19, v8
	v_cndmask_b32_e64 v10, v14, v12, s[0:1]
	v_cndmask_b32_e64 v12, 0, -1, vcc
	v_cmp_le_u32_e32 vcc, s18, v7
	v_cndmask_b32_e64 v7, 0, -1, vcc
	v_cmp_eq_u32_e32 vcc, s19, v8
	v_cndmask_b32_e32 v7, v12, v7, vcc
	v_cmp_ne_u32_e32 vcc, 0, v7
	v_cndmask_b32_e64 v7, v13, v11, s[0:1]
	v_cndmask_b32_e32 v8, v9, v10, vcc
	v_cndmask_b32_e32 v7, v4, v7, vcc
.LBB0_4:                                ;   in Loop: Header=BB0_2 Depth=1
	s_andn2_saveexec_b64 s[0:1], s[20:21]
	s_cbranch_execz .LBB0_6
; %bb.5:                                ;   in Loop: Header=BB0_2 Depth=1
	v_cvt_f32_u32_e32 v4, s18
	s_sub_i32 s20, 0, s18
	v_rcp_iflag_f32_e32 v4, v4
	v_mul_f32_e32 v4, 0x4f7ffffe, v4
	v_cvt_u32_f32_e32 v4, v4
	v_mul_lo_u32 v7, s20, v4
	v_mul_hi_u32 v7, v4, v7
	v_add_u32_e32 v4, v4, v7
	v_mul_hi_u32 v4, v5, v4
	v_mul_lo_u32 v7, v4, s18
	v_add_u32_e32 v8, 1, v4
	v_sub_u32_e32 v7, v5, v7
	v_subrev_u32_e32 v9, s18, v7
	v_cmp_le_u32_e32 vcc, s18, v7
	v_cndmask_b32_e32 v7, v7, v9, vcc
	v_cndmask_b32_e32 v4, v4, v8, vcc
	v_add_u32_e32 v8, 1, v4
	v_cmp_le_u32_e32 vcc, s18, v7
	v_cndmask_b32_e32 v7, v4, v8, vcc
	v_mov_b32_e32 v8, v3
.LBB0_6:                                ;   in Loop: Header=BB0_2 Depth=1
	s_or_b64 exec, exec, s[0:1]
	v_mul_lo_u32 v4, v8, s18
	v_mul_lo_u32 v11, v7, s19
	v_mad_u64_u32 v[9:10], s[0:1], v7, s18, 0
	s_load_dwordx2 s[0:1], s[6:7], 0x0
	s_add_u32 s16, s16, 1
	v_add3_u32 v4, v10, v11, v4
	v_sub_co_u32_e32 v5, vcc, v5, v9
	v_subb_co_u32_e32 v4, vcc, v6, v4, vcc
	s_waitcnt lgkmcnt(0)
	v_mul_lo_u32 v4, s0, v4
	v_mul_lo_u32 v6, s1, v5
	v_mad_u64_u32 v[1:2], s[0:1], s0, v5, v[1:2]
	s_addc_u32 s17, s17, 0
	s_add_u32 s6, s6, 8
	v_add3_u32 v2, v6, v2, v4
	v_mov_b32_e32 v4, s10
	v_mov_b32_e32 v5, s11
	s_addc_u32 s7, s7, 0
	v_cmp_ge_u64_e32 vcc, s[16:17], v[4:5]
	s_add_u32 s14, s14, 8
	s_addc_u32 s15, s15, 0
	s_cbranch_vccnz .LBB0_9
; %bb.7:                                ;   in Loop: Header=BB0_2 Depth=1
	v_mov_b32_e32 v5, v7
	v_mov_b32_e32 v6, v8
	s_branch .LBB0_2
.LBB0_8:
	v_mov_b32_e32 v8, v6
	v_mov_b32_e32 v7, v5
.LBB0_9:
	s_lshl_b64 s[0:1], s[10:11], 3
	s_add_u32 s0, s2, s0
	s_addc_u32 s1, s3, s1
	s_load_dwordx2 s[2:3], s[0:1], 0x0
	s_load_dwordx2 s[6:7], s[4:5], 0x20
                                        ; implicit-def: $vgpr14_vgpr15
                                        ; implicit-def: $vgpr42_vgpr43
                                        ; implicit-def: $vgpr38_vgpr39
                                        ; implicit-def: $vgpr30_vgpr31
                                        ; implicit-def: $vgpr22_vgpr23
                                        ; implicit-def: $vgpr18_vgpr19
                                        ; implicit-def: $vgpr26_vgpr27
                                        ; implicit-def: $vgpr34_vgpr35
                                        ; implicit-def: $vgpr46_vgpr47
                                        ; implicit-def: $vgpr50_vgpr51
                                        ; implicit-def: $vgpr10_vgpr11
	s_waitcnt lgkmcnt(0)
	v_mad_u64_u32 v[1:2], s[0:1], s2, v7, v[1:2]
	s_mov_b32 s0, 0x18d3019
	v_mul_lo_u32 v3, s2, v8
	v_mul_lo_u32 v4, s3, v7
	v_mul_hi_u32 v5, v0, s0
	v_cmp_gt_u64_e32 vcc, s[6:7], v[7:8]
	s_movk_i32 s0, 0x78
	v_add3_u32 v2, v4, v2, v3
	v_mul_u32_u24_e32 v3, 0xa5, v5
	v_sub_u32_e32 v52, v0, v3
	v_cmp_gt_u32_e64 s[0:1], s0, v52
	v_lshlrev_b64 v[54:55], 4, v[1:2]
	s_and_b64 s[2:3], vcc, s[0:1]
	s_and_saveexec_b64 s[4:5], s[2:3]
	s_cbranch_execz .LBB0_11
; %bb.10:
	v_mov_b32_e32 v53, 0
	v_mov_b32_e32 v0, s13
	v_add_co_u32_e64 v2, s[2:3], s12, v54
	v_addc_co_u32_e64 v3, s[2:3], v0, v55, s[2:3]
	v_lshlrev_b64 v[0:1], 4, v[52:53]
	v_add_co_u32_e64 v0, s[2:3], v2, v0
	v_addc_co_u32_e64 v1, s[2:3], v3, v1, s[2:3]
	s_movk_i32 s2, 0x1000
	v_add_co_u32_e64 v2, s[2:3], s2, v0
	v_addc_co_u32_e64 v3, s[2:3], 0, v1, s[2:3]
	s_movk_i32 s2, 0x2000
	;; [unrolled: 3-line block ×4, first 2 shown]
	v_add_co_u32_e64 v56, s[2:3], s2, v0
	global_load_dwordx4 v[8:11], v[0:1], off
	global_load_dwordx4 v[12:15], v[0:1], off offset:1920
	v_addc_co_u32_e64 v57, s[2:3], 0, v1, s[2:3]
	global_load_dwordx4 v[40:43], v[0:1], off offset:3840
	global_load_dwordx4 v[48:51], v[2:3], off offset:1664
	global_load_dwordx4 v[44:47], v[2:3], off offset:3584
	global_load_dwordx4 v[36:39], v[4:5], off offset:1408
	global_load_dwordx4 v[28:31], v[4:5], off offset:3328
	global_load_dwordx4 v[32:35], v[6:7], off offset:1152
	global_load_dwordx4 v[24:27], v[6:7], off offset:3072
	global_load_dwordx4 v[16:19], v[56:57], off offset:896
	global_load_dwordx4 v[20:23], v[56:57], off offset:2816
.LBB0_11:
	s_or_b64 exec, exec, s[4:5]
	s_waitcnt vmcnt(0)
	v_add_f64 v[86:87], v[12:13], -v[20:21]
	s_mov_b32 s4, 0x8eee2c13
	s_mov_b32 s5, 0xbfed1bb4
	v_add_f64 v[62:63], v[14:15], v[22:23]
	v_add_f64 v[70:71], v[40:41], -v[16:17]
	s_mov_b32 s10, 0xd9c712b6
	s_mov_b32 s2, 0xbb3a28a1
	;; [unrolled: 1-line block ×3, first 2 shown]
	v_mul_f64 v[98:99], v[86:87], s[4:5]
	s_mov_b32 s3, 0xbfe82f19
	v_add_f64 v[64:65], v[42:43], v[18:19]
	v_add_f64 v[80:81], v[48:49], -v[24:25]
	v_mul_f64 v[100:101], v[70:71], s[2:3]
	s_mov_b32 s6, 0x7f775887
	s_mov_b32 s14, 0xfd768dbf
	;; [unrolled: 1-line block ×3, first 2 shown]
	v_fma_f64 v[2:3], v[62:63], s[10:11], v[98:99]
	s_mov_b32 s15, 0x3fd207e7
	v_add_f64 v[56:57], v[14:15], -v[22:23]
	v_add_f64 v[72:73], v[26:27], v[50:51]
	v_fma_f64 v[6:7], v[64:65], s[6:7], v[100:101]
	v_mul_f64 v[106:107], v[80:81], s[14:15]
	s_mov_b32 s16, 0x9bcd5057
	s_mov_b32 s20, 0x43842ef
	v_add_f64 v[2:3], v[2:3], v[10:11]
	s_mov_b32 s17, 0xbfeeb42a
	s_mov_b32 s21, 0xbfefac9e
	v_add_f64 v[58:59], v[12:13], v[20:21]
	v_add_f64 v[60:61], v[42:43], -v[18:19]
	v_mul_f64 v[96:97], v[56:57], s[4:5]
	v_mul_f64 v[116:117], v[56:57], s[20:21]
	;; [unrolled: 1-line block ×3, first 2 shown]
	v_add_f64 v[2:3], v[6:7], v[2:3]
	v_fma_f64 v[6:7], v[72:73], s[16:17], v[106:107]
	s_mov_b32 s24, 0x640f44db
	s_mov_b32 s25, 0xbfc2375f
	v_add_f64 v[66:67], v[40:41], v[16:17]
	v_mul_f64 v[90:91], v[60:61], s[2:3]
	v_fma_f64 v[0:1], v[58:59], s[10:11], -v[96:97]
	v_add_f64 v[68:69], v[50:51], -v[26:27]
	v_mul_f64 v[122:123], v[60:61], s[14:15]
	v_add_f64 v[2:3], v[6:7], v[2:3]
	v_fma_f64 v[6:7], v[58:59], s[24:25], -v[116:117]
	v_fma_f64 v[102:103], v[62:63], s[24:25], v[128:129]
	v_mul_f64 v[132:133], v[70:71], s[14:15]
	s_mov_b32 s27, 0x3fed1bb4
	s_mov_b32 s26, s4
	v_fma_f64 v[4:5], v[66:67], s[6:7], -v[90:91]
	v_add_f64 v[0:1], v[0:1], v[8:9]
	v_add_f64 v[74:75], v[24:25], v[48:49]
	v_mul_f64 v[82:83], v[68:69], s[14:15]
	v_add_f64 v[76:77], v[46:47], -v[34:35]
	v_add_f64 v[88:89], v[44:45], -v[32:33]
	v_add_f64 v[6:7], v[6:7], v[8:9]
	v_fma_f64 v[114:115], v[66:67], s[16:17], -v[122:123]
	v_add_f64 v[102:103], v[102:103], v[10:11]
	v_fma_f64 v[118:119], v[64:65], s[16:17], v[132:133]
	v_mul_f64 v[120:121], v[68:69], s[26:27]
	v_mul_f64 v[126:127], v[80:81], s[26:27]
	s_mov_b32 s28, 0xf8bb580b
	s_mov_b32 s19, 0x3fefac9e
	;; [unrolled: 1-line block ×4, first 2 shown]
	v_add_f64 v[0:1], v[4:5], v[0:1]
	v_fma_f64 v[4:5], v[74:75], s[16:17], -v[82:83]
	v_add_f64 v[84:85], v[32:33], v[44:45]
	v_mul_f64 v[92:93], v[76:77], s[18:19]
	v_add_f64 v[78:79], v[34:35], v[46:47]
	v_mul_f64 v[112:113], v[88:89], s[18:19]
	v_add_f64 v[94:95], v[38:39], -v[30:31]
	v_add_f64 v[104:105], v[36:37], -v[28:29]
	v_add_f64 v[6:7], v[114:115], v[6:7]
	v_add_f64 v[118:119], v[118:119], v[102:103]
	v_fma_f64 v[130:131], v[74:75], s[10:11], -v[120:121]
	v_fma_f64 v[138:139], v[72:73], s[10:11], v[126:127]
	v_mul_f64 v[124:125], v[76:77], s[28:29]
	v_mul_f64 v[134:135], v[88:89], s[28:29]
	s_mov_b32 s34, 0x8764f0ba
	s_mov_b32 s31, 0x3fe14ced
	;; [unrolled: 1-line block ×4, first 2 shown]
	v_add_f64 v[0:1], v[4:5], v[0:1]
	v_fma_f64 v[4:5], v[84:85], s[24:25], -v[92:93]
	v_fma_f64 v[136:137], v[78:79], s[24:25], v[112:113]
	v_add_f64 v[108:109], v[36:37], v[28:29]
	v_mul_f64 v[110:111], v[94:95], s[30:31]
	v_add_f64 v[102:103], v[38:39], v[30:31]
	v_mul_f64 v[114:115], v[104:105], s[30:31]
	v_add_f64 v[6:7], v[130:131], v[6:7]
	v_add_f64 v[138:139], v[138:139], v[118:119]
	v_fma_f64 v[140:141], v[84:85], s[34:35], -v[124:125]
	v_fma_f64 v[142:143], v[78:79], s[34:35], v[134:135]
	v_mul_f64 v[118:119], v[94:95], s[2:3]
	v_mul_f64 v[130:131], v[104:105], s[2:3]
	v_add_f64 v[0:1], v[4:5], v[0:1]
	v_add_f64 v[2:3], v[136:137], v[2:3]
	v_fma_f64 v[4:5], v[108:109], s[34:35], -v[110:111]
	v_fma_f64 v[136:137], v[102:103], s[34:35], v[114:115]
	v_add_f64 v[6:7], v[140:141], v[6:7]
	v_add_f64 v[138:139], v[142:143], v[138:139]
	v_fma_f64 v[140:141], v[108:109], s[6:7], -v[118:119]
	v_fma_f64 v[142:143], v[102:103], s[6:7], v[130:131]
	v_add_f64 v[0:1], v[4:5], v[0:1]
	v_add_f64 v[2:3], v[136:137], v[2:3]
	v_add_f64 v[4:5], v[140:141], v[6:7]
	v_add_f64 v[6:7], v[142:143], v[138:139]
	s_and_saveexec_b64 s[22:23], s[0:1]
	s_cbranch_execz .LBB0_13
; %bb.12:
	s_mov_b32 s1, 0xbfd207e7
	s_mov_b32 s0, s14
	v_mul_f64 v[136:137], v[86:87], s[0:1]
	v_mul_f64 v[140:141], v[58:59], s[16:17]
	v_mul_f64 v[138:139], v[70:71], s[30:31]
	v_mul_f64 v[180:181], v[66:67], s[34:35]
	v_mul_f64 v[146:147], v[80:81], s[2:3]
	v_mul_f64 v[190:191], v[74:75], s[6:7]
	s_mov_b32 s37, 0x3fe82f19
	s_mov_b32 s36, s2
	v_fma_f64 v[142:143], v[62:63], s[16:17], v[136:137]
	v_fma_f64 v[182:183], v[56:57], s[14:15], v[140:141]
	;; [unrolled: 1-line block ×3, first 2 shown]
	v_fma_f64 v[136:137], v[62:63], s[16:17], -v[136:137]
	v_fma_f64 v[192:193], v[60:61], s[28:29], v[180:181]
	v_mul_f64 v[186:187], v[88:89], s[26:27]
	v_fma_f64 v[188:189], v[72:73], s[6:7], v[146:147]
	v_fma_f64 v[138:139], v[64:65], s[34:35], -v[138:139]
	v_add_f64 v[142:143], v[142:143], v[10:11]
	v_add_f64 v[182:183], v[182:183], v[8:9]
	v_fma_f64 v[194:195], v[68:69], s[36:37], v[190:191]
	v_add_f64 v[136:137], v[136:137], v[10:11]
	v_fma_f64 v[146:147], v[72:73], s[6:7], -v[146:147]
	v_fma_f64 v[196:197], v[78:79], s[10:11], v[186:187]
	v_fma_f64 v[186:187], v[78:79], s[10:11], -v[186:187]
	v_mul_f64 v[202:203], v[86:87], s[2:3]
	v_add_f64 v[142:143], v[178:179], v[142:143]
	v_mul_f64 v[178:179], v[84:85], s[10:11]
	v_add_f64 v[182:183], v[192:193], v[182:183]
	;; [unrolled: 2-line block ×3, first 2 shown]
	v_fma_f64 v[140:141], v[56:57], s[0:1], v[140:141]
	v_fma_f64 v[180:181], v[60:61], s[30:31], v[180:181]
	v_mul_f64 v[204:205], v[80:81], s[28:29]
	v_add_f64 v[142:143], v[188:189], v[142:143]
	v_mul_f64 v[188:189], v[108:109], s[24:25]
	v_fma_f64 v[138:139], v[76:77], s[4:5], v[178:179]
	v_add_f64 v[182:183], v[194:195], v[182:183]
	v_fma_f64 v[200:201], v[102:103], s[24:25], v[192:193]
	v_add_f64 v[136:137], v[146:147], v[136:137]
	v_fma_f64 v[192:193], v[102:103], s[24:25], -v[192:193]
	v_add_f64 v[140:141], v[140:141], v[8:9]
	v_add_f64 v[142:143], v[196:197], v[142:143]
	v_fma_f64 v[146:147], v[94:95], s[18:19], v[188:189]
	v_fma_f64 v[190:191], v[68:69], s[2:3], v[190:191]
	v_add_f64 v[182:183], v[138:139], v[182:183]
	v_mul_f64 v[210:211], v[88:89], s[0:1]
	v_add_f64 v[186:187], v[186:187], v[136:137]
	v_fma_f64 v[212:213], v[72:73], s[34:35], v[204:205]
	v_add_f64 v[140:141], v[180:181], v[140:141]
	v_add_f64 v[138:139], v[200:201], v[142:143]
	v_mul_f64 v[200:201], v[58:59], s[6:7]
	v_fma_f64 v[178:179], v[76:77], s[26:27], v[178:179]
	v_add_f64 v[136:137], v[146:147], v[182:183]
	v_mul_f64 v[146:147], v[70:71], s[18:19]
	v_fma_f64 v[182:183], v[62:63], s[6:7], v[202:203]
	v_add_f64 v[142:143], v[192:193], v[186:187]
	v_mul_f64 v[186:187], v[66:67], s[24:25]
	v_add_f64 v[140:141], v[190:191], v[140:141]
	v_fma_f64 v[192:193], v[56:57], s[36:37], v[200:201]
	v_fma_f64 v[214:215], v[78:79], s[16:17], v[210:211]
	v_mul_f64 v[144:145], v[62:63], s[24:25]
	v_fma_f64 v[206:207], v[64:65], s[24:25], v[146:147]
	v_add_f64 v[182:183], v[182:183], v[10:11]
	v_fma_f64 v[200:201], v[56:57], s[2:3], v[200:201]
	v_fma_f64 v[208:209], v[60:61], s[20:21], v[186:187]
	v_add_f64 v[140:141], v[178:179], v[140:141]
	v_add_f64 v[192:193], v[192:193], v[8:9]
	v_mul_f64 v[152:153], v[58:59], s[24:25]
	v_mul_f64 v[160:161], v[64:65], s[16:17]
	;; [unrolled: 1-line block ×3, first 2 shown]
	v_add_f64 v[182:183], v[206:207], v[182:183]
	v_add_f64 v[128:129], v[144:145], -v[128:129]
	v_mul_f64 v[150:151], v[62:63], s[10:11]
	v_mul_f64 v[158:159], v[66:67], s[16:17]
	v_add_f64 v[192:193], v[208:209], v[192:193]
	v_mul_f64 v[208:209], v[104:105], s[26:27]
	v_mul_f64 v[168:169], v[72:73], s[10:11]
	;; [unrolled: 1-line block ×3, first 2 shown]
	v_add_f64 v[182:183], v[212:213], v[182:183]
	v_fma_f64 v[206:207], v[68:69], s[30:31], v[180:181]
	v_add_f64 v[132:133], v[160:161], -v[132:133]
	v_add_f64 v[128:129], v[128:129], v[10:11]
	v_add_f64 v[116:117], v[116:117], v[152:153]
	v_fma_f64 v[178:179], v[102:103], s[10:11], v[208:209]
	v_fma_f64 v[152:153], v[68:69], s[28:29], v[180:181]
	v_add_f64 v[14:15], v[14:15], v[10:11]
	v_add_f64 v[182:183], v[214:215], v[182:183]
	v_fma_f64 v[214:215], v[64:65], s[24:25], -v[146:147]
	v_add_f64 v[12:13], v[12:13], v[8:9]
	v_mul_f64 v[156:157], v[64:65], s[6:7]
	v_mul_f64 v[212:213], v[108:109], s[10:11]
	v_add_f64 v[126:127], v[168:169], -v[126:127]
	v_add_f64 v[128:129], v[132:133], v[128:129]
	v_add_f64 v[122:123], v[122:123], v[158:159]
	v_add_f64 v[146:147], v[178:179], v[182:183]
	v_fma_f64 v[182:183], v[60:61], s[18:19], v[186:187]
	v_add_f64 v[186:187], v[200:201], v[8:9]
	v_add_f64 v[116:117], v[116:117], v[8:9]
	v_fma_f64 v[132:133], v[76:77], s[0:1], v[190:191]
	v_add_f64 v[98:99], v[150:151], -v[98:99]
	v_add_f64 v[14:15], v[42:43], v[14:15]
	v_add_f64 v[40:41], v[40:41], v[12:13]
	v_mul_f64 v[164:165], v[72:73], s[16:17]
	v_add_f64 v[126:127], v[126:127], v[128:129]
	v_add_f64 v[180:181], v[182:183], v[186:187]
	;; [unrolled: 1-line block ×3, first 2 shown]
	v_fma_f64 v[122:123], v[94:95], s[26:27], v[212:213]
	v_add_f64 v[150:151], v[98:99], v[10:11]
	v_mul_f64 v[166:167], v[74:75], s[10:11]
	v_add_f64 v[14:15], v[50:51], v[14:15]
	v_add_f64 v[40:41], v[48:49], v[40:41]
	v_mul_f64 v[172:173], v[78:79], s[24:25]
	v_add_f64 v[152:153], v[152:153], v[180:181]
	v_add_f64 v[106:107], v[164:165], -v[106:107]
	v_mul_f64 v[86:87], v[86:87], s[28:29]
	v_mul_f64 v[148:149], v[58:59], s[10:11]
	v_add_f64 v[120:121], v[120:121], v[166:167]
	v_add_f64 v[14:15], v[46:47], v[14:15]
	v_add_f64 v[40:41], v[44:45], v[40:41]
	v_add_f64 v[112:113], v[172:173], -v[112:113]
	v_add_f64 v[128:129], v[132:133], v[152:153]
	v_add_f64 v[132:133], v[156:157], -v[100:101]
	v_mul_f64 v[70:71], v[70:71], s[4:5]
	v_mul_f64 v[44:45], v[58:59], s[34:35]
	;; [unrolled: 1-line block ×3, first 2 shown]
	v_add_f64 v[116:117], v[120:121], v[116:117]
	v_add_f64 v[120:121], v[96:97], v[148:149]
	;; [unrolled: 1-line block ×6, first 2 shown]
	v_fma_f64 v[202:203], v[62:63], s[6:7], -v[202:203]
	v_mul_f64 v[80:81], v[80:81], s[20:21]
	v_fma_f64 v[42:43], v[64:65], s[10:11], v[70:71]
	v_fma_f64 v[58:59], v[62:63], s[34:35], -v[86:87]
	v_fma_f64 v[38:39], v[56:57], s[28:29], v[44:45]
	v_fma_f64 v[44:45], v[56:57], s[30:31], v[44:45]
	v_add_f64 v[106:107], v[106:107], v[122:123]
	v_fma_f64 v[122:123], v[62:63], s[34:35], v[86:87]
	v_mul_f64 v[62:63], v[66:67], s[10:11]
	v_mul_f64 v[162:163], v[74:75], s[16:17]
	v_add_f64 v[90:91], v[90:91], v[154:155]
	v_add_f64 v[120:121], v[120:121], v[8:9]
	;; [unrolled: 1-line block ×7, first 2 shown]
	v_fma_f64 v[48:49], v[72:73], s[24:25], v[80:81]
	v_mul_f64 v[40:41], v[74:75], s[24:25]
	v_fma_f64 v[56:57], v[64:65], s[10:11], -v[70:71]
	v_add_f64 v[10:11], v[58:59], v[10:11]
	v_fma_f64 v[58:59], v[60:61], s[4:5], v[62:63]
	v_add_f64 v[30:31], v[38:39], v[8:9]
	v_add_f64 v[42:43], v[42:43], v[112:113]
	v_fma_f64 v[188:189], v[94:95], s[20:21], v[188:189]
	v_fma_f64 v[36:37], v[60:61], s[26:27], v[62:63]
	v_add_f64 v[8:9], v[44:45], v[8:9]
	v_mul_f64 v[170:171], v[84:85], s[24:25]
	v_add_f64 v[82:83], v[82:83], v[162:163]
	v_add_f64 v[90:91], v[90:91], v[120:121]
	;; [unrolled: 1-line block ×4, first 2 shown]
	v_mul_f64 v[88:89], v[88:89], s[2:3]
	v_add_f64 v[42:43], v[48:49], v[42:43]
	v_mul_f64 v[48:49], v[84:85], s[6:7]
	v_fma_f64 v[38:39], v[72:73], s[24:25], -v[80:81]
	v_add_f64 v[10:11], v[56:57], v[10:11]
	v_fma_f64 v[44:45], v[68:69], s[20:21], v[40:41]
	v_add_f64 v[30:31], v[58:59], v[30:31]
	v_mul_f64 v[174:175], v[84:85], s[34:35]
	v_mul_f64 v[176:177], v[78:79], s[34:35]
	v_add_f64 v[140:141], v[188:189], v[140:141]
	v_fma_f64 v[178:179], v[72:73], s[34:35], -v[204:205]
	v_add_f64 v[188:189], v[214:215], v[202:203]
	v_fma_f64 v[32:33], v[68:69], s[18:19], v[40:41]
	v_add_f64 v[8:9], v[36:37], v[8:9]
	v_add_f64 v[92:93], v[92:93], v[170:171]
	v_add_f64 v[82:83], v[82:83], v[90:91]
	v_add_f64 v[14:15], v[26:27], v[14:15]
	v_add_f64 v[24:25], v[24:25], v[28:29]
	v_mul_f64 v[90:91], v[104:105], s[0:1]
	v_mul_f64 v[46:47], v[108:109], s[16:17]
	v_fma_f64 v[34:35], v[78:79], s[6:7], -v[88:89]
	v_add_f64 v[10:11], v[38:39], v[10:11]
	v_fma_f64 v[36:37], v[76:77], s[2:3], v[48:49]
	v_add_f64 v[26:27], v[44:45], v[30:31]
	v_mul_f64 v[184:185], v[108:109], s[34:35]
	v_mul_f64 v[194:195], v[102:103], s[34:35]
	;; [unrolled: 1-line block ×4, first 2 shown]
	v_add_f64 v[134:135], v[176:177], -v[134:135]
	v_add_f64 v[124:125], v[124:125], v[174:175]
	v_fma_f64 v[160:161], v[78:79], s[16:17], -v[210:211]
	v_add_f64 v[178:179], v[178:179], v[188:189]
	v_fma_f64 v[216:217], v[76:77], s[14:15], v[190:191]
	v_add_f64 v[192:193], v[206:207], v[192:193]
	v_fma_f64 v[28:29], v[76:77], s[36:37], v[48:49]
	v_add_f64 v[8:9], v[32:33], v[8:9]
	v_add_f64 v[82:83], v[92:93], v[82:83]
	v_fma_f64 v[92:93], v[78:79], s[6:7], v[88:89]
	v_add_f64 v[14:15], v[18:19], v[14:15]
	v_add_f64 v[18:19], v[16:17], v[24:25]
	v_fma_f64 v[30:31], v[102:103], s[16:17], -v[90:91]
	v_add_f64 v[10:11], v[34:35], v[10:11]
	v_fma_f64 v[32:33], v[94:95], s[0:1], v[46:47]
	v_add_f64 v[24:25], v[36:37], v[26:27]
	v_add_f64 v[114:115], v[194:195], -v[114:115]
	v_add_f64 v[50:51], v[110:111], v[184:185]
	v_add_f64 v[130:131], v[196:197], -v[130:131]
	v_add_f64 v[126:127], v[134:135], v[126:127]
	v_add_f64 v[118:119], v[118:119], v[198:199]
	;; [unrolled: 1-line block ×3, first 2 shown]
	v_fma_f64 v[182:183], v[102:103], s[10:11], -v[208:209]
	v_add_f64 v[158:159], v[160:161], v[178:179]
	v_fma_f64 v[206:207], v[94:95], s[4:5], v[212:213]
	v_add_f64 v[192:193], v[216:217], v[192:193]
	v_fma_f64 v[36:37], v[94:95], s[14:15], v[46:47]
	;; [unrolled: 2-line block ×3, first 2 shown]
	v_add_f64 v[34:35], v[92:93], v[42:43]
	v_add_f64 v[22:23], v[22:23], v[14:15]
	;; [unrolled: 1-line block ×10, first 2 shown]
	s_movk_i32 s0, 0xb0
	v_add_f64 v[144:145], v[206:207], v[192:193]
	v_add_f64 v[24:25], v[36:37], v[8:9]
	v_mad_u32_u24 v8, v52, s0, 0
	v_add_f64 v[26:27], v[26:27], v[34:35]
	ds_write_b128 v8, v[20:23]
	ds_write_b128 v8, v[14:17] offset:16
	ds_write_b128 v8, v[10:13] offset:32
	;; [unrolled: 1-line block ×10, first 2 shown]
.LBB0_13:
	s_or_b64 exec, exec, s[22:23]
	s_movk_i32 s0, 0x75
	v_mul_lo_u16_sdwa v8, v52, s0 dst_sel:DWORD dst_unused:UNUSED_PAD src0_sel:BYTE_0 src1_sel:DWORD
	v_sub_u16_sdwa v10, v52, v8 dst_sel:DWORD dst_unused:UNUSED_PAD src0_sel:DWORD src1_sel:BYTE_1
	v_lshrrev_b16_e32 v10, 1, v10
	v_and_b32_e32 v10, 0x7f, v10
	v_add_u32_e32 v9, 0x14a, v52
	v_add_u16_sdwa v8, v10, v8 dst_sel:DWORD dst_unused:UNUSED_PAD src0_sel:DWORD src1_sel:BYTE_1
	s_mov_b32 s0, 0xba2f
	v_add_u32_e32 v42, 0xa5, v52
	v_lshrrev_b16_e32 v50, 3, v8
	v_mul_u32_u24_sdwa v44, v9, s0 dst_sel:DWORD dst_unused:UNUSED_PAD src0_sel:WORD_0 src1_sel:DWORD
	v_mul_lo_u16_e32 v8, 11, v50
	v_mul_u32_u24_sdwa v45, v42, s0 dst_sel:DWORD dst_unused:UNUSED_PAD src0_sel:WORD_0 src1_sel:DWORD
	v_lshrrev_b32_e32 v69, 19, v44
	v_sub_u16_e32 v10, v52, v8
	v_mov_b32_e32 v8, 4
	v_lshrrev_b32_e32 v51, 19, v45
	v_mul_lo_u16_e32 v19, 11, v69
	v_add_u32_e32 v18, 0x1ef, v52
	v_lshlrev_b32_sdwa v53, v8, v10 dst_sel:DWORD dst_unused:UNUSED_PAD src0_sel:DWORD src1_sel:BYTE_0
	v_mul_lo_u16_e32 v10, 11, v51
	v_sub_u16_e32 v19, v9, v19
	v_sub_u16_e32 v10, v42, v10
	v_lshlrev_b32_e32 v70, 4, v19
	v_mul_u32_u24_sdwa v19, v18, s0 dst_sel:DWORD dst_unused:UNUSED_PAD src0_sel:WORD_0 src1_sel:DWORD
	s_waitcnt lgkmcnt(0)
	s_barrier
	v_lshlrev_b32_e32 v68, 4, v10
	global_load_dwordx4 v[10:13], v53, s[8:9]
	global_load_dwordx4 v[14:17], v68, s[8:9]
	v_lshrrev_b32_e32 v71, 19, v19
	v_mul_lo_u16_e32 v19, 11, v71
	v_sub_u16_e32 v22, v18, v19
	global_load_dwordx4 v[18:21], v70, s[8:9]
	v_lshlrev_b32_e32 v72, 4, v22
	global_load_dwordx4 v[22:25], v72, s[8:9]
	v_lshl_add_u32 v43, v52, 4, 0
	ds_read_b128 v[26:29], v43
	ds_read_b128 v[30:33], v43 offset:2640
	ds_read_b128 v[34:37], v43 offset:10560
	;; [unrolled: 1-line block ×7, first 2 shown]
	v_mul_u32_u24_e32 v51, 0x160, v51
	v_mul_u32_u24_e32 v69, 0x160, v69
	v_add3_u32 v74, 0, v51, v68
	v_mul_u32_u24_e32 v77, 0x160, v50
	v_add3_u32 v75, 0, v69, v70
	;; [unrolled: 2-line block ×3, first 2 shown]
	s_waitcnt vmcnt(0) lgkmcnt(0)
	s_barrier
	s_movk_i32 s0, 0x6e
	v_cmp_gt_u32_e64 s[0:1], s0, v52
	v_mul_f64 v[50:51], v[36:37], v[12:13]
	v_mul_f64 v[12:13], v[34:35], v[12:13]
	;; [unrolled: 1-line block ×8, first 2 shown]
	v_fma_f64 v[34:35], v[34:35], v[10:11], v[50:51]
	v_fma_f64 v[10:11], v[36:37], v[10:11], -v[12:13]
	v_fma_f64 v[12:13], v[38:39], v[14:15], v[68:69]
	v_fma_f64 v[36:37], v[40:41], v[14:15], -v[16:17]
	;; [unrolled: 2-line block ×4, first 2 shown]
	v_add_f64 v[14:15], v[26:27], -v[34:35]
	v_add_f64 v[16:17], v[28:29], -v[10:11]
	;; [unrolled: 1-line block ×8, first 2 shown]
	v_fma_f64 v[26:27], v[26:27], 2.0, -v[14:15]
	v_fma_f64 v[28:29], v[28:29], 2.0, -v[16:17]
	;; [unrolled: 1-line block ×8, first 2 shown]
	v_add3_u32 v46, 0, v77, v53
	ds_write_b128 v46, v[14:17] offset:176
	ds_write_b128 v46, v[26:29]
	ds_write_b128 v74, v[30:33]
	ds_write_b128 v74, v[18:21] offset:176
	ds_write_b128 v75, v[38:41]
	ds_write_b128 v75, v[34:37] offset:176
	ds_write_b128 v76, v[10:13]
	ds_write_b128 v76, v[22:25] offset:176
	s_waitcnt lgkmcnt(0)
	s_barrier
	ds_read_b128 v[14:17], v43
	ds_read_b128 v[18:21], v43 offset:2640
	ds_read_b128 v[26:29], v43 offset:7040
	;; [unrolled: 1-line block ×5, first 2 shown]
	s_and_saveexec_b64 s[2:3], s[0:1]
	s_cbranch_execz .LBB0_15
; %bb.14:
	ds_read_b128 v[10:13], v43 offset:5280
	ds_read_b128 v[22:25], v43 offset:12320
	;; [unrolled: 1-line block ×3, first 2 shown]
.LBB0_15:
	s_or_b64 exec, exec, s[2:3]
	v_lshrrev_b32_e32 v53, 20, v45
	v_lshrrev_b16_e32 v46, 1, v52
	v_mul_lo_u16_e32 v45, 22, v53
	v_and_b32_e32 v46, 0x7f, v46
	v_sub_u16_e32 v76, v42, v45
	v_mul_lo_u16_e32 v46, 0xbb, v46
	v_lshlrev_b32_e32 v45, 5, v76
	v_lshrrev_b32_e32 v44, 20, v44
	v_lshrrev_b16_e32 v50, 11, v46
	global_load_dwordx4 v[46:49], v45, s[8:9] offset:192
	global_load_dwordx4 v[56:59], v45, s[8:9] offset:176
	v_mul_lo_u16_e32 v45, 22, v44
	v_sub_u16_e32 v45, v9, v45
	v_mul_lo_u16_e32 v51, 22, v50
	v_lshlrev_b32_e32 v9, 5, v45
	global_load_dwordx4 v[60:63], v9, s[8:9] offset:192
	global_load_dwordx4 v[64:67], v9, s[8:9] offset:176
	v_sub_u16_e32 v9, v52, v51
	v_mov_b32_e32 v51, 5
	v_lshlrev_b32_sdwa v51, v51, v9 dst_sel:DWORD dst_unused:UNUSED_PAD src0_sel:DWORD src1_sel:BYTE_0
	global_load_dwordx4 v[68:71], v51, s[8:9] offset:176
	global_load_dwordx4 v[72:75], v51, s[8:9] offset:192
	v_mul_u32_u24_e32 v51, 0x420, v53
	v_lshlrev_b32_e32 v53, 4, v76
	v_mul_u32_u24_e32 v84, 0x420, v50
	v_add3_u32 v53, 0, v51, v53
	v_lshlrev_b32_sdwa v85, v8, v9 dst_sel:DWORD dst_unused:UNUSED_PAD src0_sel:DWORD src1_sel:BYTE_0
	s_mov_b32 s2, 0xe8584caa
	s_mov_b32 s3, 0xbfebb67a
	;; [unrolled: 1-line block ×4, first 2 shown]
	s_waitcnt vmcnt(0) lgkmcnt(0)
	s_barrier
	v_mul_f64 v[8:9], v[36:37], v[58:59]
	v_mul_f64 v[50:51], v[34:35], v[58:59]
	;; [unrolled: 1-line block ×12, first 2 shown]
	v_fma_f64 v[8:9], v[34:35], v[56:57], v[8:9]
	v_fma_f64 v[34:35], v[36:37], v[56:57], -v[50:51]
	v_fma_f64 v[36:37], v[38:39], v[46:47], v[58:59]
	v_fma_f64 v[38:39], v[40:41], v[46:47], -v[48:49]
	;; [unrolled: 2-line block ×6, first 2 shown]
	v_add_f64 v[46:47], v[8:9], v[36:37]
	v_add_f64 v[48:49], v[34:35], -v[38:39]
	v_add_f64 v[50:51], v[20:21], v[34:35]
	v_add_f64 v[34:35], v[34:35], v[38:39]
	v_add_f64 v[58:59], v[22:23], v[4:5]
	v_add_f64 v[64:65], v[24:25], v[6:7]
	v_add_f64 v[70:71], v[26:27], v[30:31]
	v_add_f64 v[72:73], v[28:29], -v[32:33]
	v_add_f64 v[74:75], v[16:17], v[28:29]
	v_add_f64 v[28:29], v[28:29], v[32:33]
	;; [unrolled: 1-line block ×3, first 2 shown]
	v_add_f64 v[56:57], v[8:9], -v[36:37]
	v_add_f64 v[8:9], v[10:11], v[22:23]
	v_add_f64 v[60:61], v[24:25], -v[6:7]
	v_add_f64 v[62:63], v[12:13], v[24:25]
	;; [unrolled: 2-line block ×3, first 2 shown]
	v_add_f64 v[76:77], v[26:27], -v[30:31]
	v_fma_f64 v[18:19], v[46:47], -0.5, v[18:19]
	v_add_f64 v[24:25], v[50:51], v[38:39]
	v_fma_f64 v[20:21], v[34:35], -0.5, v[20:21]
	v_fma_f64 v[46:47], v[58:59], -0.5, v[10:11]
	v_fma_f64 v[50:51], v[64:65], -0.5, v[12:13]
	v_fma_f64 v[12:13], v[70:71], -0.5, v[14:15]
	v_fma_f64 v[14:15], v[28:29], -0.5, v[16:17]
	v_add_f64 v[22:23], v[40:41], v[36:37]
	v_add_f64 v[8:9], v[8:9], v[4:5]
	;; [unrolled: 1-line block ×5, first 2 shown]
	v_fma_f64 v[30:31], v[48:49], s[2:3], v[18:19]
	v_fma_f64 v[4:5], v[48:49], s[4:5], v[18:19]
	;; [unrolled: 1-line block ×12, first 2 shown]
	v_add3_u32 v20, 0, v84, v85
	ds_write_b128 v20, v[26:29]
	ds_write_b128 v20, v[34:37] offset:352
	ds_write_b128 v20, v[38:41] offset:704
	ds_write_b128 v53, v[22:25]
	ds_write_b128 v53, v[30:33] offset:352
	ds_write_b128 v53, v[4:7] offset:704
	s_and_saveexec_b64 s[2:3], s[0:1]
	s_cbranch_execz .LBB0_17
; %bb.16:
	v_mul_lo_u16_e32 v20, 0x42, v44
	v_lshlrev_b32_e32 v21, 4, v45
	v_lshlrev_b32_e32 v20, 4, v20
	v_add3_u32 v20, 0, v21, v20
	ds_write_b128 v20, v[8:11]
	ds_write_b128 v20, v[12:15] offset:352
	ds_write_b128 v20, v[16:19] offset:704
.LBB0_17:
	s_or_b64 exec, exec, s[2:3]
	s_waitcnt lgkmcnt(0)
	s_barrier
	ds_read_b128 v[20:23], v43
	ds_read_b128 v[36:39], v43 offset:4224
	ds_read_b128 v[32:35], v43 offset:8448
	;; [unrolled: 1-line block ×4, first 2 shown]
	s_movk_i32 s0, 0x63
	v_cmp_gt_u32_e64 s[0:1], s0, v52
	s_and_saveexec_b64 s[2:3], s[0:1]
	s_cbranch_execz .LBB0_19
; %bb.18:
	ds_read_b128 v[4:7], v43 offset:2640
	ds_read_b128 v[8:11], v43 offset:6864
	;; [unrolled: 1-line block ×5, first 2 shown]
.LBB0_19:
	s_or_b64 exec, exec, s[2:3]
	s_movk_i32 s2, 0xf9
	v_mul_lo_u16_sdwa v40, v52, s2 dst_sel:DWORD dst_unused:UNUSED_PAD src0_sel:BYTE_0 src1_sel:DWORD
	v_lshrrev_b16_e32 v53, 14, v40
	v_mul_lo_u16_e32 v40, 0x42, v53
	v_sub_u16_e32 v70, v52, v40
	v_mov_b32_e32 v40, 6
	v_lshlrev_b32_sdwa v40, v40, v70 dst_sel:DWORD dst_unused:UNUSED_PAD src0_sel:DWORD src1_sel:BYTE_0
	global_load_dwordx4 v[44:47], v40, s[8:9] offset:880
	global_load_dwordx4 v[48:51], v40, s[8:9] offset:896
	;; [unrolled: 1-line block ×4, first 2 shown]
	v_mov_b32_e32 v71, 4
	v_lshlrev_b32_sdwa v78, v71, v70 dst_sel:DWORD dst_unused:UNUSED_PAD src0_sel:DWORD src1_sel:BYTE_0
	s_mov_b32 s6, 0x134454ff
	s_mov_b32 s7, 0xbfee6f0e
	;; [unrolled: 1-line block ×10, first 2 shown]
	v_mul_u32_u24_e32 v53, 0x14a0, v53
	s_waitcnt vmcnt(0) lgkmcnt(0)
	s_barrier
	v_mul_f64 v[40:41], v[38:39], v[46:47]
	v_mul_f64 v[46:47], v[36:37], v[46:47]
	;; [unrolled: 1-line block ×8, first 2 shown]
	v_fma_f64 v[36:37], v[36:37], v[44:45], v[40:41]
	v_fma_f64 v[38:39], v[38:39], v[44:45], -v[46:47]
	v_fma_f64 v[32:33], v[32:33], v[48:49], v[64:65]
	v_fma_f64 v[34:35], v[34:35], v[48:49], -v[50:51]
	v_fma_f64 v[28:29], v[28:29], v[56:57], v[66:67]
	v_fma_f64 v[26:27], v[26:27], v[60:61], -v[68:69]
	v_fma_f64 v[30:31], v[30:31], v[56:57], -v[58:59]
	v_fma_f64 v[24:25], v[24:25], v[60:61], v[62:63]
	v_add_f64 v[40:41], v[20:21], v[36:37]
	v_add_f64 v[64:65], v[22:23], v[38:39]
	v_add_f64 v[50:51], v[36:37], -v[32:33]
	v_add_f64 v[60:61], v[32:33], -v[36:37]
	v_add_f64 v[44:45], v[32:33], v[28:29]
	v_add_f64 v[74:75], v[38:39], v[26:27]
	;; [unrolled: 1-line block ×3, first 2 shown]
	v_add_f64 v[56:57], v[24:25], -v[28:29]
	v_add_f64 v[58:59], v[36:37], v[24:25]
	v_add_f64 v[46:47], v[38:39], -v[26:27]
	v_add_f64 v[48:49], v[34:35], -v[30:31]
	;; [unrolled: 1-line block ×6, first 2 shown]
	v_add_f64 v[32:33], v[40:41], v[32:33]
	v_fma_f64 v[40:41], v[44:45], -0.5, v[20:21]
	v_add_f64 v[44:45], v[50:51], v[56:57]
	v_add_f64 v[34:35], v[64:65], v[34:35]
	v_fma_f64 v[56:57], v[66:67], -0.5, v[22:23]
	v_add_f64 v[62:63], v[28:29], -v[24:25]
	v_fma_f64 v[20:21], v[58:59], -0.5, v[20:21]
	v_fma_f64 v[22:23], v[74:75], -0.5, v[22:23]
	v_add_f64 v[72:73], v[26:27], -v[30:31]
	v_add_f64 v[76:77], v[30:31], -v[26:27]
	v_add_f64 v[28:29], v[32:33], v[28:29]
	v_fma_f64 v[32:33], v[46:47], s[6:7], v[40:41]
	v_add_f64 v[30:31], v[34:35], v[30:31]
	v_fma_f64 v[34:35], v[36:37], s[14:15], v[56:57]
	;; [unrolled: 2-line block ×3, first 2 shown]
	v_fma_f64 v[64:65], v[68:69], s[6:7], v[22:23]
	v_fma_f64 v[40:41], v[46:47], s[14:15], v[40:41]
	v_fma_f64 v[62:63], v[48:49], s[6:7], v[20:21]
	v_fma_f64 v[66:67], v[68:69], s[14:15], v[22:23]
	v_fma_f64 v[56:57], v[36:37], s[6:7], v[56:57]
	v_add_f64 v[58:59], v[70:71], v[72:73]
	v_add_f64 v[20:21], v[28:29], v[24:25]
	v_fma_f64 v[24:25], v[48:49], s[4:5], v[32:33]
	v_add_f64 v[22:23], v[30:31], v[26:27]
	v_fma_f64 v[26:27], v[68:69], s[10:11], v[34:35]
	;; [unrolled: 2-line block ×3, first 2 shown]
	v_fma_f64 v[30:31], v[36:37], s[10:11], v[64:65]
	v_fma_f64 v[28:29], v[48:49], s[10:11], v[40:41]
	;; [unrolled: 1-line block ×13, first 2 shown]
	v_add3_u32 v40, 0, v53, v78
	ds_write_b128 v40, v[20:23]
	ds_write_b128 v40, v[24:27] offset:1056
	ds_write_b128 v40, v[32:35] offset:2112
	;; [unrolled: 1-line block ×4, first 2 shown]
	s_and_saveexec_b64 s[16:17], s[0:1]
	s_cbranch_execz .LBB0_21
; %bb.20:
	s_mov_b32 s0, 0xf83f
	v_mul_u32_u24_sdwa v20, v42, s0 dst_sel:DWORD dst_unused:UNUSED_PAD src0_sel:WORD_0 src1_sel:DWORD
	v_lshrrev_b32_e32 v46, 22, v20
	v_mul_lo_u16_e32 v20, 0x42, v46
	v_sub_u16_e32 v53, v42, v20
	v_lshlrev_b32_e32 v36, 6, v53
	global_load_dwordx4 v[20:23], v36, s[8:9] offset:896
	global_load_dwordx4 v[24:27], v36, s[8:9] offset:880
	;; [unrolled: 1-line block ×4, first 2 shown]
	v_mul_lo_u16_e32 v58, 0x14a, v46
	s_waitcnt vmcnt(3)
	v_mul_f64 v[36:37], v[12:13], v[22:23]
	s_waitcnt vmcnt(2)
	v_mul_f64 v[38:39], v[8:9], v[26:27]
	;; [unrolled: 2-line block ×4, first 2 shown]
	v_mul_f64 v[22:23], v[14:15], v[22:23]
	v_mul_f64 v[30:31], v[18:19], v[30:31]
	;; [unrolled: 1-line block ×4, first 2 shown]
	v_fma_f64 v[14:15], v[14:15], v[20:21], -v[36:37]
	v_fma_f64 v[10:11], v[10:11], v[24:25], -v[38:39]
	;; [unrolled: 1-line block ×4, first 2 shown]
	v_fma_f64 v[12:13], v[12:13], v[20:21], v[22:23]
	v_fma_f64 v[16:17], v[16:17], v[28:29], v[30:31]
	;; [unrolled: 1-line block ×4, first 2 shown]
	v_add_f64 v[20:21], v[14:15], -v[10:11]
	v_add_f64 v[30:31], v[10:11], -v[14:15]
	;; [unrolled: 1-line block ×3, first 2 shown]
	v_add_f64 v[26:27], v[10:11], v[2:3]
	v_add_f64 v[32:33], v[2:3], -v[18:19]
	v_add_f64 v[34:35], v[14:15], v[18:19]
	v_add_f64 v[44:45], v[8:9], v[0:1]
	v_add_f64 v[56:57], v[12:13], v[16:17]
	v_add_f64 v[36:37], v[6:7], v[10:11]
	v_add_f64 v[28:29], v[8:9], -v[0:1]
	v_add_f64 v[38:39], v[12:13], -v[8:9]
	v_add_f64 v[48:49], v[8:9], -v[12:13]
	v_add_f64 v[8:9], v[4:5], v[8:9]
	v_add_f64 v[24:25], v[12:13], -v[16:17]
	v_add_f64 v[40:41], v[16:17], -v[0:1]
	;; [unrolled: 1-line block ×3, first 2 shown]
	v_add_f64 v[20:21], v[20:21], v[22:23]
	v_fma_f64 v[22:23], v[26:27], -0.5, v[6:7]
	v_add_f64 v[26:27], v[30:31], v[32:33]
	v_fma_f64 v[6:7], v[34:35], -0.5, v[6:7]
	v_fma_f64 v[32:33], v[44:45], -0.5, v[4:5]
	;; [unrolled: 1-line block ×3, first 2 shown]
	v_add_f64 v[46:47], v[14:15], -v[18:19]
	v_add_f64 v[14:15], v[36:37], v[14:15]
	v_add_f64 v[8:9], v[8:9], v[12:13]
	v_add_f64 v[50:51], v[0:1], -v[16:17]
	v_add_f64 v[30:31], v[38:39], v[40:41]
	v_fma_f64 v[12:13], v[24:25], s[14:15], v[22:23]
	v_fma_f64 v[22:23], v[24:25], s[6:7], v[22:23]
	v_fma_f64 v[36:37], v[28:29], s[6:7], v[6:7]
	v_fma_f64 v[6:7], v[28:29], s[14:15], v[6:7]
	v_fma_f64 v[38:39], v[10:11], s[14:15], v[4:5]
	v_fma_f64 v[4:5], v[10:11], s[6:7], v[4:5]
	v_add_f64 v[14:15], v[14:15], v[18:19]
	v_fma_f64 v[18:19], v[46:47], s[6:7], v[32:33]
	v_fma_f64 v[32:33], v[46:47], s[14:15], v[32:33]
	v_add_f64 v[8:9], v[8:9], v[16:17]
	v_add_f64 v[34:35], v[48:49], v[50:51]
	v_fma_f64 v[16:17], v[28:29], s[10:11], v[22:23]
	v_fma_f64 v[22:23], v[24:25], s[4:5], v[36:37]
	;; [unrolled: 1-line block ×8, first 2 shown]
	v_add_f64 v[2:3], v[14:15], v[2:3]
	v_add_f64 v[0:1], v[8:9], v[0:1]
	v_fma_f64 v[10:11], v[20:21], s[2:3], v[16:17]
	v_fma_f64 v[18:19], v[26:27], s[2:3], v[24:25]
	;; [unrolled: 1-line block ×8, first 2 shown]
	v_lshlrev_b32_e32 v20, 4, v58
	v_lshlrev_b32_e32 v21, 4, v53
	v_add3_u32 v20, 0, v21, v20
	ds_write_b128 v20, v[0:3]
	ds_write_b128 v20, v[16:19] offset:1056
	ds_write_b128 v20, v[8:11] offset:2112
	;; [unrolled: 1-line block ×4, first 2 shown]
.LBB0_21:
	s_or_b64 exec, exec, s[16:17]
	s_waitcnt lgkmcnt(0)
	s_barrier
	s_and_saveexec_b64 s[0:1], vcc
	s_cbranch_execz .LBB0_23
; %bb.22:
	v_mul_u32_u24_e32 v0, 3, v42
	v_lshlrev_b32_e32 v0, 4, v0
	v_mov_b32_e32 v1, s9
	v_add_co_u32_e32 v10, vcc, s8, v0
	v_addc_co_u32_e32 v18, vcc, 0, v1, vcc
	v_add_co_u32_e32 v16, vcc, 0x13f0, v10
	v_mul_u32_u24_e32 v0, 3, v52
	v_addc_co_u32_e32 v17, vcc, 0, v18, vcc
	v_lshlrev_b32_e32 v0, 4, v0
	v_add_co_u32_e32 v0, vcc, s8, v0
	s_movk_i32 s1, 0x13f0
	v_addc_co_u32_e32 v1, vcc, 0, v1, vcc
	v_add_co_u32_e32 v24, vcc, s1, v0
	s_movk_i32 s0, 0x1000
	v_addc_co_u32_e32 v25, vcc, 0, v1, vcc
	v_add_co_u32_e32 v8, vcc, s0, v0
	v_addc_co_u32_e32 v9, vcc, 0, v1, vcc
	v_add_co_u32_e32 v26, vcc, 0x1000, v10
	v_addc_co_u32_e32 v27, vcc, 0, v18, vcc
	global_load_dwordx4 v[0:3], v[8:9], off offset:1008
	global_load_dwordx4 v[4:7], v[24:25], off offset:32
	s_nop 0
	global_load_dwordx4 v[8:11], v[16:17], off offset:32
	global_load_dwordx4 v[12:15], v[16:17], off offset:16
	s_nop 0
	global_load_dwordx4 v[16:19], v[26:27], off offset:1008
	global_load_dwordx4 v[20:23], v[24:25], off offset:16
	ds_read_b128 v[24:27], v43 offset:2640
	ds_read_b128 v[28:31], v43
	ds_read_b128 v[32:35], v43 offset:13200
	ds_read_b128 v[36:39], v43 offset:10560
	;; [unrolled: 1-line block ×6, first 2 shown]
	v_mov_b32_e32 v53, 0
	v_mov_b32_e32 v40, s13
	v_add_co_u32_e32 v43, vcc, s12, v54
	v_addc_co_u32_e32 v54, vcc, v40, v55, vcc
	v_lshlrev_b64 v[40:41], 4, v[52:53]
	s_mov_b32 s3, 0x634c0635
	v_add_co_u32_e32 v40, vcc, v43, v40
	v_addc_co_u32_e32 v41, vcc, v54, v41, vcc
	v_mul_hi_u32 v52, v42, s3
	v_add_co_u32_e32 v42, vcc, s0, v40
	s_movk_i32 s1, 0x2000
	v_addc_co_u32_e32 v43, vcc, 0, v41, vcc
	v_add_co_u32_e32 v54, vcc, s1, v40
	s_movk_i32 s2, 0x3000
	v_addc_co_u32_e32 v55, vcc, 0, v41, vcc
	v_add_co_u32_e32 v64, vcc, s2, v40
	v_addc_co_u32_e32 v65, vcc, 0, v41, vcc
	v_lshrrev_b32_e32 v52, 7, v52
	v_mul_u32_u24_e32 v52, 0x3de, v52
	s_waitcnt vmcnt(5) lgkmcnt(2)
	v_mul_f64 v[66:67], v[2:3], v[50:51]
	s_waitcnt vmcnt(4) lgkmcnt(0)
	v_mul_f64 v[68:69], v[6:7], v[62:63]
	v_mul_f64 v[2:3], v[48:49], v[2:3]
	;; [unrolled: 1-line block ×3, first 2 shown]
	s_waitcnt vmcnt(2)
	v_mul_f64 v[70:71], v[14:15], v[32:33]
	s_waitcnt vmcnt(0)
	v_mul_f64 v[76:77], v[22:23], v[36:37]
	v_mul_f64 v[36:37], v[20:21], v[36:37]
	;; [unrolled: 1-line block ×7, first 2 shown]
	v_fma_f64 v[48:49], v[0:1], v[48:49], v[66:67]
	v_fma_f64 v[60:61], v[4:5], v[60:61], v[68:69]
	v_fma_f64 v[0:1], v[0:1], v[50:51], -v[2:3]
	v_fma_f64 v[2:3], v[4:5], v[62:63], -v[6:7]
	;; [unrolled: 1-line block ×4, first 2 shown]
	v_fma_f64 v[20:21], v[38:39], v[22:23], v[36:37]
	v_fma_f64 v[6:7], v[8:9], v[56:57], v[72:73]
	;; [unrolled: 1-line block ×3, first 2 shown]
	v_fma_f64 v[8:9], v[8:9], v[58:59], -v[10:11]
	v_fma_f64 v[10:11], v[16:17], v[46:47], -v[18:19]
	v_fma_f64 v[16:17], v[16:17], v[44:45], v[74:75]
	v_add_f64 v[18:19], v[0:1], -v[2:3]
	v_add_f64 v[2:3], v[48:49], -v[60:61]
	;; [unrolled: 1-line block ×8, first 2 shown]
	v_fma_f64 v[4:5], v[0:1], 2.0, -v[18:19]
	v_fma_f64 v[14:15], v[48:49], 2.0, -v[2:3]
	;; [unrolled: 1-line block ×8, first 2 shown]
	v_add_f64 v[2:3], v[22:23], -v[2:3]
	v_add_f64 v[0:1], v[20:21], v[18:19]
	v_add_f64 v[6:7], v[30:31], -v[4:5]
	v_add_f64 v[4:5], v[28:29], -v[14:15]
	;; [unrolled: 1-line block ×3, first 2 shown]
	v_add_f64 v[8:9], v[34:35], v[8:9]
	v_add_f64 v[14:15], v[36:37], -v[24:25]
	v_add_f64 v[12:13], v[38:39], -v[16:17]
	v_fma_f64 v[18:19], v[22:23], 2.0, -v[2:3]
	v_fma_f64 v[16:17], v[20:21], 2.0, -v[0:1]
	;; [unrolled: 1-line block ×4, first 2 shown]
	global_store_dwordx4 v[64:65], v[0:3], off offset:3552
	v_fma_f64 v[26:27], v[32:33], 2.0, -v[10:11]
	v_fma_f64 v[2:3], v[36:37], 2.0, -v[14:15]
	;; [unrolled: 1-line block ×4, first 2 shown]
	global_store_dwordx4 v[42:43], v[16:19], off offset:1184
	global_store_dwordx4 v[54:55], v[4:7], off offset:2368
	global_store_dwordx4 v[40:41], v[20:23], off
	v_lshlrev_b64 v[4:5], 4, v[52:53]
	v_add_co_u32_e32 v4, vcc, v40, v4
	v_addc_co_u32_e32 v5, vcc, v41, v5, vcc
	global_store_dwordx4 v[4:5], v[0:3], off offset:2640
	s_nop 0
	v_add_co_u32_e32 v0, vcc, s0, v4
	v_addc_co_u32_e32 v1, vcc, 0, v5, vcc
	global_store_dwordx4 v[0:1], v[24:27], off offset:3824
	v_add_co_u32_e32 v0, vcc, 0x3000, v4
	v_addc_co_u32_e32 v1, vcc, 0, v5, vcc
	global_store_dwordx4 v[0:1], v[12:15], off offset:912
	;; [unrolled: 3-line block ×3, first 2 shown]
.LBB0_23:
	s_endpgm
	.section	.rodata,"a",@progbits
	.p2align	6, 0x0
	.amdhsa_kernel fft_rtc_back_len1320_factors_11_2_3_5_4_wgs_165_tpt_165_dp_ip_CI_unitstride_sbrr_dirReg
		.amdhsa_group_segment_fixed_size 0
		.amdhsa_private_segment_fixed_size 0
		.amdhsa_kernarg_size 88
		.amdhsa_user_sgpr_count 6
		.amdhsa_user_sgpr_private_segment_buffer 1
		.amdhsa_user_sgpr_dispatch_ptr 0
		.amdhsa_user_sgpr_queue_ptr 0
		.amdhsa_user_sgpr_kernarg_segment_ptr 1
		.amdhsa_user_sgpr_dispatch_id 0
		.amdhsa_user_sgpr_flat_scratch_init 0
		.amdhsa_user_sgpr_private_segment_size 0
		.amdhsa_uses_dynamic_stack 0
		.amdhsa_system_sgpr_private_segment_wavefront_offset 0
		.amdhsa_system_sgpr_workgroup_id_x 1
		.amdhsa_system_sgpr_workgroup_id_y 0
		.amdhsa_system_sgpr_workgroup_id_z 0
		.amdhsa_system_sgpr_workgroup_info 0
		.amdhsa_system_vgpr_workitem_id 0
		.amdhsa_next_free_vgpr 218
		.amdhsa_next_free_sgpr 38
		.amdhsa_reserve_vcc 1
		.amdhsa_reserve_flat_scratch 0
		.amdhsa_float_round_mode_32 0
		.amdhsa_float_round_mode_16_64 0
		.amdhsa_float_denorm_mode_32 3
		.amdhsa_float_denorm_mode_16_64 3
		.amdhsa_dx10_clamp 1
		.amdhsa_ieee_mode 1
		.amdhsa_fp16_overflow 0
		.amdhsa_exception_fp_ieee_invalid_op 0
		.amdhsa_exception_fp_denorm_src 0
		.amdhsa_exception_fp_ieee_div_zero 0
		.amdhsa_exception_fp_ieee_overflow 0
		.amdhsa_exception_fp_ieee_underflow 0
		.amdhsa_exception_fp_ieee_inexact 0
		.amdhsa_exception_int_div_zero 0
	.end_amdhsa_kernel
	.text
.Lfunc_end0:
	.size	fft_rtc_back_len1320_factors_11_2_3_5_4_wgs_165_tpt_165_dp_ip_CI_unitstride_sbrr_dirReg, .Lfunc_end0-fft_rtc_back_len1320_factors_11_2_3_5_4_wgs_165_tpt_165_dp_ip_CI_unitstride_sbrr_dirReg
                                        ; -- End function
	.section	.AMDGPU.csdata,"",@progbits
; Kernel info:
; codeLenInByte = 8332
; NumSgprs: 42
; NumVgprs: 218
; ScratchSize: 0
; MemoryBound: 1
; FloatMode: 240
; IeeeMode: 1
; LDSByteSize: 0 bytes/workgroup (compile time only)
; SGPRBlocks: 5
; VGPRBlocks: 54
; NumSGPRsForWavesPerEU: 42
; NumVGPRsForWavesPerEU: 218
; Occupancy: 1
; WaveLimiterHint : 1
; COMPUTE_PGM_RSRC2:SCRATCH_EN: 0
; COMPUTE_PGM_RSRC2:USER_SGPR: 6
; COMPUTE_PGM_RSRC2:TRAP_HANDLER: 0
; COMPUTE_PGM_RSRC2:TGID_X_EN: 1
; COMPUTE_PGM_RSRC2:TGID_Y_EN: 0
; COMPUTE_PGM_RSRC2:TGID_Z_EN: 0
; COMPUTE_PGM_RSRC2:TIDIG_COMP_CNT: 0
	.type	__hip_cuid_cee2701e8b5889e6,@object ; @__hip_cuid_cee2701e8b5889e6
	.section	.bss,"aw",@nobits
	.globl	__hip_cuid_cee2701e8b5889e6
__hip_cuid_cee2701e8b5889e6:
	.byte	0                               ; 0x0
	.size	__hip_cuid_cee2701e8b5889e6, 1

	.ident	"AMD clang version 19.0.0git (https://github.com/RadeonOpenCompute/llvm-project roc-6.4.0 25133 c7fe45cf4b819c5991fe208aaa96edf142730f1d)"
	.section	".note.GNU-stack","",@progbits
	.addrsig
	.addrsig_sym __hip_cuid_cee2701e8b5889e6
	.amdgpu_metadata
---
amdhsa.kernels:
  - .args:
      - .actual_access:  read_only
        .address_space:  global
        .offset:         0
        .size:           8
        .value_kind:     global_buffer
      - .offset:         8
        .size:           8
        .value_kind:     by_value
      - .actual_access:  read_only
        .address_space:  global
        .offset:         16
        .size:           8
        .value_kind:     global_buffer
      - .actual_access:  read_only
        .address_space:  global
        .offset:         24
        .size:           8
        .value_kind:     global_buffer
      - .offset:         32
        .size:           8
        .value_kind:     by_value
      - .actual_access:  read_only
        .address_space:  global
        .offset:         40
        .size:           8
        .value_kind:     global_buffer
      - .actual_access:  read_only
        .address_space:  global
        .offset:         48
        .size:           8
        .value_kind:     global_buffer
      - .offset:         56
        .size:           4
        .value_kind:     by_value
      - .actual_access:  read_only
        .address_space:  global
        .offset:         64
        .size:           8
        .value_kind:     global_buffer
      - .actual_access:  read_only
        .address_space:  global
        .offset:         72
        .size:           8
        .value_kind:     global_buffer
      - .address_space:  global
        .offset:         80
        .size:           8
        .value_kind:     global_buffer
    .group_segment_fixed_size: 0
    .kernarg_segment_align: 8
    .kernarg_segment_size: 88
    .language:       OpenCL C
    .language_version:
      - 2
      - 0
    .max_flat_workgroup_size: 165
    .name:           fft_rtc_back_len1320_factors_11_2_3_5_4_wgs_165_tpt_165_dp_ip_CI_unitstride_sbrr_dirReg
    .private_segment_fixed_size: 0
    .sgpr_count:     42
    .sgpr_spill_count: 0
    .symbol:         fft_rtc_back_len1320_factors_11_2_3_5_4_wgs_165_tpt_165_dp_ip_CI_unitstride_sbrr_dirReg.kd
    .uniform_work_group_size: 1
    .uses_dynamic_stack: false
    .vgpr_count:     218
    .vgpr_spill_count: 0
    .wavefront_size: 64
amdhsa.target:   amdgcn-amd-amdhsa--gfx906
amdhsa.version:
  - 1
  - 2
...

	.end_amdgpu_metadata
